;; amdgpu-corpus repo=llvm/llvm-project kind=harvested arch=n/a opt=n/a
// NOTE: Assertions have been autogenerated by utils/update_mc_test_checks.py UTC_ARGS: --version 5
// RUN: llvm-mc -triple=amdgcn -mcpu=gfx1250 -show-encoding %s | FileCheck --check-prefixes=GFX1250,GFX1250-ASM %s
// RUN: llvm-mc -triple=amdgcn -mcpu=gfx1250 -show-encoding %s | %extract-encodings | llvm-mc -triple=amdgcn -mcpu=gfx1250 -disassemble -show-encoding | FileCheck --check-prefixes=GFX1250,GFX1250-DIS %s
// RUN: not llvm-mc -triple=amdgcn -mcpu=gfx1200 %s -filetype=null 2>&1 | FileCheck --check-prefix=GFX1200-ERR --implicit-check-not=error: %s

v_fmac_f64 v[4:5], v[2:3], v[4:5]
// GFX1200-ERR: :[[@LINE-1]]:1: error: instruction not supported on this GPU (gfx1200): v_fmac_f64
// GFX1250: v_fmac_f64_e32 v[4:5], v[2:3], v[4:5]   ; encoding: [0x02,0x09,0x08,0x2e]

v_fmac_f64 v[254:255], v[2:3], v[4:5]
// GFX1200-ERR: :[[@LINE-1]]:1: error: instruction not supported on this GPU (gfx1200): v_fmac_f64
// GFX1250: v_fmac_f64_e32 v[254:255], v[2:3], v[4:5] ; encoding: [0x02,0x09,0xfc,0x2f]

v_fmac_f64 v[4:5], v[254:255], v[4:5]
// GFX1200-ERR: :[[@LINE-1]]:1: error: instruction not supported on this GPU (gfx1200): v_fmac_f64
// GFX1250: v_fmac_f64_e32 v[4:5], v[254:255], v[4:5] ; encoding: [0xfe,0x09,0x08,0x2e]

v_fmac_f64 v[4:5], vcc, v[4:5]
// GFX1200-ERR: :[[@LINE-1]]:1: error: instruction not supported on this GPU (gfx1200): v_fmac_f64
// GFX1250: v_fmac_f64_e32 v[4:5], vcc, v[4:5]      ; encoding: [0x6a,0x08,0x08,0x2e]

v_fmac_f64 v[4:5], exec, v[4:5]
// GFX1200-ERR: :[[@LINE-1]]:1: error: instruction not supported on this GPU (gfx1200): v_fmac_f64
// GFX1250: v_fmac_f64_e32 v[4:5], exec, v[4:5]     ; encoding: [0x7e,0x08,0x08,0x2e]

v_fmac_f64 v[4:5], 0, v[4:5]
// GFX1200-ERR: :[[@LINE-1]]:1: error: instruction not supported on this GPU (gfx1200): v_fmac_f64
// GFX1250: v_fmac_f64_e32 v[4:5], 0, v[4:5]        ; encoding: [0x80,0x08,0x08,0x2e]

v_fmac_f64 v[4:5], -1, v[4:5]
// GFX1200-ERR: :[[@LINE-1]]:1: error: instruction not supported on this GPU (gfx1200): v_fmac_f64
// GFX1250: v_fmac_f64_e32 v[4:5], -1, v[4:5]       ; encoding: [0xc1,0x08,0x08,0x2e]

v_fmac_f64 v[4:5], 0.5, v[4:5]
// GFX1200-ERR: :[[@LINE-1]]:1: error: instruction not supported on this GPU (gfx1200): v_fmac_f64
// GFX1250: v_fmac_f64_e32 v[4:5], 0.5, v[4:5]      ; encoding: [0xf0,0x08,0x08,0x2e]

v_fmac_f64 v[4:5], -4.0, v[4:5]
// GFX1200-ERR: :[[@LINE-1]]:1: error: instruction not supported on this GPU (gfx1200): v_fmac_f64
// GFX1250: v_fmac_f64_e32 v[4:5], -4.0, v[4:5]     ; encoding: [0xf7,0x08,0x08,0x2e]

v_fmac_f64 v[4:5], 0xaf123456, v[4:5]
// GFX1200-ERR: :[[@LINE-1]]:1: error: instruction not supported on this GPU (gfx1200): v_fmac_f64
// GFX1250: v_fmac_f64_e32 v[4:5], 0xaf123456, v[4:5] ; encoding: [0xff,0x08,0x08,0x2e,0x56,0x34,0x12,0xaf]

v_fmac_f64 v[4:5], 0x3f717273, v[4:5]
// GFX1200-ERR: :[[@LINE-1]]:1: error: instruction not supported on this GPU (gfx1200): v_fmac_f64
// GFX1250: v_fmac_f64_e32 v[4:5], 0x3f717273, v[4:5] ; encoding: [0xff,0x08,0x08,0x2e,0x73,0x72,0x71,0x3f]

v_fmac_f64 v[4:5], v[2:3], v[254:255]
// GFX1200-ERR: :[[@LINE-1]]:1: error: instruction not supported on this GPU (gfx1200): v_fmac_f64
// GFX1250: v_fmac_f64_e32 v[4:5], v[2:3], v[254:255] ; encoding: [0x02,0xfd,0x09,0x2e]

v_fmac_f64 v[4:5], v[2:3], v[8:9]
// GFX1200-ERR: :[[@LINE-1]]:1: error: instruction not supported on this GPU (gfx1200): v_fmac_f64
// GFX1250: v_fmac_f64_e32 v[4:5], v[2:3], v[8:9]   ; encoding: [0x02,0x11,0x08,0x2e]

v_fmac_f64 v[254:255], v[2:3], v[8:9]
// GFX1200-ERR: :[[@LINE-1]]:1: error: instruction not supported on this GPU (gfx1200): v_fmac_f64
// GFX1250: v_fmac_f64_e32 v[254:255], v[2:3], v[8:9] ; encoding: [0x02,0x11,0xfc,0x2f]

v_fmac_f64 v[4:5], v[254:255], v[8:9]
// GFX1200-ERR: :[[@LINE-1]]:1: error: instruction not supported on this GPU (gfx1200): v_fmac_f64
// GFX1250: v_fmac_f64_e32 v[4:5], v[254:255], v[8:9] ; encoding: [0xfe,0x11,0x08,0x2e]

v_fmac_f64 v[4:5], vcc, v[8:9]
// GFX1200-ERR: :[[@LINE-1]]:1: error: instruction not supported on this GPU (gfx1200): v_fmac_f64
// GFX1250: v_fmac_f64_e32 v[4:5], vcc, v[8:9]      ; encoding: [0x6a,0x10,0x08,0x2e]

v_fmac_f64 v[4:5], exec, v[8:9]
// GFX1200-ERR: :[[@LINE-1]]:1: error: instruction not supported on this GPU (gfx1200): v_fmac_f64
// GFX1250: v_fmac_f64_e32 v[4:5], exec, v[8:9]     ; encoding: [0x7e,0x10,0x08,0x2e]

v_fmac_f64 v[4:5], 0, v[8:9]
// GFX1200-ERR: :[[@LINE-1]]:1: error: instruction not supported on this GPU (gfx1200): v_fmac_f64
// GFX1250: v_fmac_f64_e32 v[4:5], 0, v[8:9]        ; encoding: [0x80,0x10,0x08,0x2e]

v_fmac_f64 v[4:5], -1, v[8:9]
// GFX1200-ERR: :[[@LINE-1]]:1: error: instruction not supported on this GPU (gfx1200): v_fmac_f64
// GFX1250: v_fmac_f64_e32 v[4:5], -1, v[8:9]       ; encoding: [0xc1,0x10,0x08,0x2e]

v_fmac_f64 v[4:5], 0.5, v[8:9]
// GFX1200-ERR: :[[@LINE-1]]:1: error: instruction not supported on this GPU (gfx1200): v_fmac_f64
// GFX1250: v_fmac_f64_e32 v[4:5], 0.5, v[8:9]      ; encoding: [0xf0,0x10,0x08,0x2e]

v_fmac_f64 v[4:5], -4.0, v[8:9]
// GFX1200-ERR: :[[@LINE-1]]:1: error: instruction not supported on this GPU (gfx1200): v_fmac_f64
// GFX1250: v_fmac_f64_e32 v[4:5], -4.0, v[8:9]     ; encoding: [0xf7,0x10,0x08,0x2e]

v_fmac_f64 v[4:5], v[2:3], v[254:255]
// GFX1200-ERR: :[[@LINE-1]]:1: error: instruction not supported on this GPU (gfx1200): v_fmac_f64
// GFX1250: v_fmac_f64_e32 v[4:5], v[2:3], v[254:255] ; encoding: [0x02,0xfd,0x09,0x2e]

v_fmac_f64 v[4:5], v[2:3], vcc
// GFX1200-ERR: :[[@LINE-1]]:1: error: instruction not supported on this GPU (gfx1200): v_fmac_f64
// GFX1250: v_fmac_f64_e64 v[4:5], v[2:3], vcc      ; encoding: [0x04,0x00,0x17,0xd5,0x02,0xd5,0x00,0x02]

v_fmac_f64 v[4:5], v[2:3], exec
// GFX1200-ERR: :[[@LINE-1]]:1: error: instruction not supported on this GPU (gfx1200): v_fmac_f64
// GFX1250: v_fmac_f64_e64 v[4:5], v[2:3], exec     ; encoding: [0x04,0x00,0x17,0xd5,0x02,0xfd,0x00,0x02]

v_fmac_f64 v[4:5], v[2:3], 0
// GFX1200-ERR: :[[@LINE-1]]:1: error: instruction not supported on this GPU (gfx1200): v_fmac_f64
// GFX1250: v_fmac_f64_e64 v[4:5], v[2:3], 0        ; encoding: [0x04,0x00,0x17,0xd5,0x02,0x01,0x01,0x02]

v_fmac_f64 v[4:5], v[2:3], -1
// GFX1200-ERR: :[[@LINE-1]]:1: error: instruction not supported on this GPU (gfx1200): v_fmac_f64
// GFX1250: v_fmac_f64_e64 v[4:5], v[2:3], -1       ; encoding: [0x04,0x00,0x17,0xd5,0x02,0x83,0x01,0x02]

v_fmac_f64 v[4:5], v[2:3], 0.5
// GFX1200-ERR: :[[@LINE-1]]:1: error: instruction not supported on this GPU (gfx1200): v_fmac_f64
// GFX1250: v_fmac_f64_e64 v[4:5], v[2:3], 0.5      ; encoding: [0x04,0x00,0x17,0xd5,0x02,0xe1,0x01,0x02]

v_fmac_f64 v[4:5], v[2:3], -4.0
// GFX1200-ERR: :[[@LINE-1]]:1: error: instruction not supported on this GPU (gfx1200): v_fmac_f64
// GFX1250: v_fmac_f64_e64 v[4:5], v[2:3], -4.0     ; encoding: [0x04,0x00,0x17,0xd5,0x02,0xef,0x01,0x02]

v_fmac_f64 v[4:5], -v[2:3], v[8:9]
// GFX1200-ERR: :[[@LINE-1]]:1: error: instruction not supported on this GPU (gfx1200): v_fmac_f64
// GFX1250: v_fmac_f64_e64 v[4:5], -v[2:3], v[8:9]  ; encoding: [0x04,0x00,0x17,0xd5,0x02,0x11,0x02,0x22]

v_fmac_f64 v[4:5], v[2:3], -v[8:9]
// GFX1200-ERR: :[[@LINE-1]]:1: error: instruction not supported on this GPU (gfx1200): v_fmac_f64
// GFX1250: v_fmac_f64_e64 v[4:5], v[2:3], -v[8:9]  ; encoding: [0x04,0x00,0x17,0xd5,0x02,0x11,0x02,0x42]

v_fmac_f64 v[4:5], -v[2:3], -v[8:9]
// GFX1200-ERR: :[[@LINE-1]]:1: error: instruction not supported on this GPU (gfx1200): v_fmac_f64
// GFX1250: v_fmac_f64_e64 v[4:5], -v[2:3], -v[8:9] ; encoding: [0x04,0x00,0x17,0xd5,0x02,0x11,0x02,0x62]

v_fmac_f64 v[4:5], |v[2:3]|, v[8:9]
// GFX1200-ERR: :[[@LINE-1]]:1: error: instruction not supported on this GPU (gfx1200): v_fmac_f64
// GFX1250: v_fmac_f64_e64 v[4:5], |v[2:3]|, v[8:9] ; encoding: [0x04,0x01,0x17,0xd5,0x02,0x11,0x02,0x02]

v_fmac_f64 v[4:5], v[2:3], |v[8:9]|
// GFX1200-ERR: :[[@LINE-1]]:1: error: instruction not supported on this GPU (gfx1200): v_fmac_f64
// GFX1250: v_fmac_f64_e64 v[4:5], v[2:3], |v[8:9]| ; encoding: [0x04,0x02,0x17,0xd5,0x02,0x11,0x02,0x02]

v_fmac_f64 v[4:5], |v[2:3]|, |v[8:9]|
// GFX1200-ERR: :[[@LINE-1]]:1: error: instruction not supported on this GPU (gfx1200): v_fmac_f64
// GFX1250: v_fmac_f64_e64 v[4:5], |v[2:3]|, |v[8:9]| ; encoding: [0x04,0x03,0x17,0xd5,0x02,0x11,0x02,0x02]

v_fmac_f64 v[4:5], v[2:3], v[8:9] clamp
// GFX1200-ERR: :[[@LINE-1]]:1: error: instruction not supported on this GPU (gfx1200): v_fmac_f64
// GFX1250: v_fmac_f64_e64 v[4:5], v[2:3], v[8:9] clamp ; encoding: [0x04,0x80,0x17,0xd5,0x02,0x11,0x02,0x02]

v_fmac_f64 v[4:5], v[2:3], v[8:9] mul:2
// GFX1200-ERR: :[[@LINE-1]]:1: error: instruction not supported on this GPU (gfx1200): v_fmac_f64
// GFX1250: v_fmac_f64_e64 v[4:5], v[2:3], v[8:9] mul:2 ; encoding: [0x04,0x00,0x17,0xd5,0x02,0x11,0x02,0x0a]

v_fmac_f64 v[4:5], v[2:3], v[8:9] mul:4
// GFX1200-ERR: :[[@LINE-1]]:1: error: instruction not supported on this GPU (gfx1200): v_fmac_f64
// GFX1250: v_fmac_f64_e64 v[4:5], v[2:3], v[8:9] mul:4 ; encoding: [0x04,0x00,0x17,0xd5,0x02,0x11,0x02,0x12]

v_fmac_f64 v[4:5], v[2:3], v[8:9] div:2
// GFX1200-ERR: :[[@LINE-1]]:1: error: instruction not supported on this GPU (gfx1200): v_fmac_f64
// GFX1250: v_fmac_f64_e64 v[4:5], v[2:3], v[8:9] div:2 ; encoding: [0x04,0x00,0x17,0xd5,0x02,0x11,0x02,0x1a]

v_add_nc_u64 v[4:5], v[2:3], v[4:5]
// GFX1200-ERR: :[[@LINE-1]]:1: error: instruction not supported on this GPU (gfx1200): v_add_nc_u64
// GFX1250: v_add_nc_u64_e32 v[4:5], v[2:3], v[4:5] ; encoding: [0x02,0x09,0x08,0x50]

v_add_nc_u64 v[254:255], v[2:3], v[4:5]
// GFX1200-ERR: :[[@LINE-1]]:1: error: instruction not supported on this GPU (gfx1200): v_add_nc_u64
// GFX1250: v_add_nc_u64_e32 v[254:255], v[2:3], v[4:5] ; encoding: [0x02,0x09,0xfc,0x51]

v_add_nc_u64_e64 v[4:5], s[2:3], s[4:5]
// GFX1200-ERR: :[[@LINE-1]]:1: error: instruction not supported on this GPU (gfx1200): v_add_nc_u64
// GFX1250: v_add_nc_u64_e64 v[4:5], s[2:3], s[4:5] ; encoding: [0x04,0x00,0x28,0xd5,0x02,0x08,0x00,0x02]

v_add_nc_u64 v[4:5], v[254:255], v[4:5]
// GFX1200-ERR: :[[@LINE-1]]:1: error: instruction not supported on this GPU (gfx1200): v_add_nc_u64
// GFX1250: v_add_nc_u64_e32 v[4:5], v[254:255], v[4:5] ; encoding: [0xfe,0x09,0x08,0x50]

v_add_nc_u64 v[4:5], vcc, v[4:5]
// GFX1200-ERR: :[[@LINE-1]]:1: error: instruction not supported on this GPU (gfx1200): v_add_nc_u64
// GFX1250: v_add_nc_u64_e32 v[4:5], vcc, v[4:5]    ; encoding: [0x6a,0x08,0x08,0x50]

v_add_nc_u64 v[4:5], exec, v[4:5]
// GFX1200-ERR: :[[@LINE-1]]:1: error: instruction not supported on this GPU (gfx1200): v_add_nc_u64
// GFX1250: v_add_nc_u64_e32 v[4:5], exec, v[4:5]   ; encoding: [0x7e,0x08,0x08,0x50]

v_add_nc_u64 v[4:5], 0, v[4:5]
// GFX1200-ERR: :[[@LINE-1]]:1: error: instruction not supported on this GPU (gfx1200): v_add_nc_u64
// GFX1250: v_add_nc_u64_e32 v[4:5], 0, v[4:5]      ; encoding: [0x80,0x08,0x08,0x50]

v_add_nc_u64 v[4:5], -1, v[4:5]
// GFX1200-ERR: :[[@LINE-1]]:1: error: instruction not supported on this GPU (gfx1200): v_add_nc_u64
// GFX1250: v_add_nc_u64_e32 v[4:5], -1, v[4:5]     ; encoding: [0xc1,0x08,0x08,0x50]

v_add_nc_u64 v[4:5], 0.5, v[4:5]
// GFX1200-ERR: :[[@LINE-1]]:1: error: instruction not supported on this GPU (gfx1200): v_add_nc_u64
// GFX1250: v_add_nc_u64_e32 v[4:5], 0.5, v[4:5]    ; encoding: [0xf0,0x08,0x08,0x50]

v_add_nc_u64 v[4:5], -4.0, v[4:5]
// GFX1200-ERR: :[[@LINE-1]]:1: error: instruction not supported on this GPU (gfx1200): v_add_nc_u64
// GFX1250: v_add_nc_u64_e32 v[4:5], -4.0, v[4:5]   ; encoding: [0xf7,0x08,0x08,0x50]

v_add_nc_u64 v[4:5], 0xaf123456, v[4:5]
// GFX1200-ERR: :[[@LINE-1]]:1: error: instruction not supported on this GPU (gfx1200): v_add_nc_u64
// GFX1250-ASM: v_add_nc_u64_e32 v[4:5], 0xaf123456, v[4:5] ; encoding: [0xfe,0x08,0x08,0x50,0x56,0x34,0x12,0xaf,0x00,0x00,0x00,0x00]
// GFX1250-DIS: v_add_nc_u64_e32 v[4:5], lit64(0xaf123456), v[4:5] ; encoding: [0xfe,0x08,0x08,0x50,0x56,0x34,0x12,0xaf,0x00,0x00,0x00,0x00]

v_add_nc_u64 v[4:5], 0x3f717273, v[4:5]
// GFX1200-ERR: :[[@LINE-1]]:1: error: instruction not supported on this GPU (gfx1200): v_add_nc_u64
// GFX1250: v_add_nc_u64_e32 v[4:5], 0x3f717273, v[4:5] ; encoding: [0xff,0x08,0x08,0x50,0x73,0x72,0x71,0x3f]

v_add_nc_u64 v[4:5], v[2:3], v[254:255]
// GFX1200-ERR: :[[@LINE-1]]:1: error: instruction not supported on this GPU (gfx1200): v_add_nc_u64
// GFX1250: v_add_nc_u64_e32 v[4:5], v[2:3], v[254:255] ; encoding: [0x02,0xfd,0x09,0x50]

v_add_nc_u64 v[4:5], v[2:3], v[8:9]
// GFX1200-ERR: :[[@LINE-1]]:1: error: instruction not supported on this GPU (gfx1200): v_add_nc_u64
// GFX1250: v_add_nc_u64_e32 v[4:5], v[2:3], v[8:9] ; encoding: [0x02,0x11,0x08,0x50]
	;; [unrolled: 4-line block ×4, first 2 shown]

v_add_nc_u64 v[4:5], vcc, v[8:9]
// GFX1200-ERR: :[[@LINE-1]]:1: error: instruction not supported on this GPU (gfx1200): v_add_nc_u64
// GFX1250: v_add_nc_u64_e32 v[4:5], vcc, v[8:9]    ; encoding: [0x6a,0x10,0x08,0x50]

v_add_nc_u64 v[4:5], exec, v[8:9]
// GFX1200-ERR: :[[@LINE-1]]:1: error: instruction not supported on this GPU (gfx1200): v_add_nc_u64
// GFX1250: v_add_nc_u64_e32 v[4:5], exec, v[8:9]   ; encoding: [0x7e,0x10,0x08,0x50]

v_add_nc_u64 v[4:5], 0, v[8:9]
// GFX1200-ERR: :[[@LINE-1]]:1: error: instruction not supported on this GPU (gfx1200): v_add_nc_u64
// GFX1250: v_add_nc_u64_e32 v[4:5], 0, v[8:9]      ; encoding: [0x80,0x10,0x08,0x50]

v_add_nc_u64 v[4:5], -1, v[8:9]
// GFX1200-ERR: :[[@LINE-1]]:1: error: instruction not supported on this GPU (gfx1200): v_add_nc_u64
// GFX1250: v_add_nc_u64_e32 v[4:5], -1, v[8:9]     ; encoding: [0xc1,0x10,0x08,0x50]

v_add_nc_u64 v[4:5], 0.5, v[8:9]
// GFX1200-ERR: :[[@LINE-1]]:1: error: instruction not supported on this GPU (gfx1200): v_add_nc_u64
// GFX1250: v_add_nc_u64_e32 v[4:5], 0.5, v[8:9]    ; encoding: [0xf0,0x10,0x08,0x50]

v_add_nc_u64 v[4:5], -4.0, v[8:9]
// GFX1200-ERR: :[[@LINE-1]]:1: error: instruction not supported on this GPU (gfx1200): v_add_nc_u64
// GFX1250: v_add_nc_u64_e32 v[4:5], -4.0, v[8:9]   ; encoding: [0xf7,0x10,0x08,0x50]

v_add_nc_u64 v[4:5], v[2:3], v[254:255]
// GFX1200-ERR: :[[@LINE-1]]:1: error: instruction not supported on this GPU (gfx1200): v_add_nc_u64
// GFX1250: v_add_nc_u64_e32 v[4:5], v[2:3], v[254:255] ; encoding: [0x02,0xfd,0x09,0x50]

v_add_nc_u64 v[4:5], v[2:3], vcc
// GFX1200-ERR: :[[@LINE-1]]:1: error: instruction not supported on this GPU (gfx1200): v_add_nc_u64
// GFX1250: v_add_nc_u64_e64 v[4:5], v[2:3], vcc    ; encoding: [0x04,0x00,0x28,0xd5,0x02,0xd5,0x00,0x02]

v_add_nc_u64 v[4:5], v[2:3], exec
// GFX1200-ERR: :[[@LINE-1]]:1: error: instruction not supported on this GPU (gfx1200): v_add_nc_u64
// GFX1250: v_add_nc_u64_e64 v[4:5], v[2:3], exec   ; encoding: [0x04,0x00,0x28,0xd5,0x02,0xfd,0x00,0x02]

v_add_nc_u64 v[4:5], v[2:3], 0
// GFX1200-ERR: :[[@LINE-1]]:1: error: instruction not supported on this GPU (gfx1200): v_add_nc_u64
// GFX1250: v_add_nc_u64_e64 v[4:5], v[2:3], 0      ; encoding: [0x04,0x00,0x28,0xd5,0x02,0x01,0x01,0x02]

v_add_nc_u64 v[4:5], v[2:3], -1
// GFX1200-ERR: :[[@LINE-1]]:1: error: instruction not supported on this GPU (gfx1200): v_add_nc_u64
// GFX1250: v_add_nc_u64_e64 v[4:5], v[2:3], -1     ; encoding: [0x04,0x00,0x28,0xd5,0x02,0x83,0x01,0x02]

v_add_nc_u64 v[4:5], v[2:3], 0.5
// GFX1200-ERR: :[[@LINE-1]]:1: error: instruction not supported on this GPU (gfx1200): v_add_nc_u64
// GFX1250: v_add_nc_u64_e64 v[4:5], v[2:3], 0.5    ; encoding: [0x04,0x00,0x28,0xd5,0x02,0xe1,0x01,0x02]

v_add_nc_u64 v[4:5], v[2:3], -4.0
// GFX1200-ERR: :[[@LINE-1]]:1: error: instruction not supported on this GPU (gfx1200): v_add_nc_u64
// GFX1250: v_add_nc_u64_e64 v[4:5], v[2:3], -4.0   ; encoding: [0x04,0x00,0x28,0xd5,0x02,0xef,0x01,0x02]

v_add_nc_u64 v[4:5], v[2:3], v[8:9] clamp
// GFX1200-ERR: :[[@LINE-1]]:1: error: instruction not supported on this GPU (gfx1200): v_add_nc_u64
// GFX1250: v_add_nc_u64_e64 v[4:5], v[2:3], v[8:9] clamp ; encoding: [0x04,0x80,0x28,0xd5,0x02,0x11,0x02,0x02]

v_sub_nc_u64 v[4:5], v[2:3], v[4:5]
// GFX1200-ERR: :[[@LINE-1]]:1: error: instruction not supported on this GPU (gfx1200): v_sub_nc_u64
// GFX1250: v_sub_nc_u64_e32 v[4:5], v[2:3], v[4:5] ; encoding: [0x02,0x09,0x08,0x52]

v_sub_nc_u64 v[254:255], v[2:3], v[4:5]
// GFX1200-ERR: :[[@LINE-1]]:1: error: instruction not supported on this GPU (gfx1200): v_sub_nc_u64
// GFX1250: v_sub_nc_u64_e32 v[254:255], v[2:3], v[4:5] ; encoding: [0x02,0x09,0xfc,0x53]

v_sub_nc_u64_e64 v[4:5], s[2:3], s[4:5]
// GFX1200-ERR: :[[@LINE-1]]:1: error: instruction not supported on this GPU (gfx1200): v_sub_nc_u64
// GFX1250: v_sub_nc_u64_e64 v[4:5], s[2:3], s[4:5] ; encoding: [0x04,0x00,0x29,0xd5,0x02,0x08,0x00,0x02]

v_sub_nc_u64 v[4:5], v[254:255], v[4:5]
// GFX1200-ERR: :[[@LINE-1]]:1: error: instruction not supported on this GPU (gfx1200): v_sub_nc_u64
// GFX1250: v_sub_nc_u64_e32 v[4:5], v[254:255], v[4:5] ; encoding: [0xfe,0x09,0x08,0x52]

v_sub_nc_u64 v[4:5], vcc, v[4:5]
// GFX1200-ERR: :[[@LINE-1]]:1: error: instruction not supported on this GPU (gfx1200): v_sub_nc_u64
// GFX1250: v_sub_nc_u64_e32 v[4:5], vcc, v[4:5]    ; encoding: [0x6a,0x08,0x08,0x52]

v_sub_nc_u64 v[4:5], exec, v[4:5]
// GFX1200-ERR: :[[@LINE-1]]:1: error: instruction not supported on this GPU (gfx1200): v_sub_nc_u64
// GFX1250: v_sub_nc_u64_e32 v[4:5], exec, v[4:5]   ; encoding: [0x7e,0x08,0x08,0x52]

v_sub_nc_u64 v[4:5], 0, v[4:5]
// GFX1200-ERR: :[[@LINE-1]]:1: error: instruction not supported on this GPU (gfx1200): v_sub_nc_u64
// GFX1250: v_sub_nc_u64_e32 v[4:5], 0, v[4:5]      ; encoding: [0x80,0x08,0x08,0x52]

v_sub_nc_u64 v[4:5], -1, v[4:5]
// GFX1200-ERR: :[[@LINE-1]]:1: error: instruction not supported on this GPU (gfx1200): v_sub_nc_u64
// GFX1250: v_sub_nc_u64_e32 v[4:5], -1, v[4:5]     ; encoding: [0xc1,0x08,0x08,0x52]

v_sub_nc_u64 v[4:5], 0.5, v[4:5]
// GFX1200-ERR: :[[@LINE-1]]:1: error: instruction not supported on this GPU (gfx1200): v_sub_nc_u64
// GFX1250: v_sub_nc_u64_e32 v[4:5], 0.5, v[4:5]    ; encoding: [0xf0,0x08,0x08,0x52]

v_sub_nc_u64 v[4:5], -4.0, v[4:5]
// GFX1200-ERR: :[[@LINE-1]]:1: error: instruction not supported on this GPU (gfx1200): v_sub_nc_u64
// GFX1250: v_sub_nc_u64_e32 v[4:5], -4.0, v[4:5]   ; encoding: [0xf7,0x08,0x08,0x52]

v_sub_nc_u64 v[4:5], 0xaf123456, v[4:5]
// GFX1200-ERR: :[[@LINE-1]]:1: error: instruction not supported on this GPU (gfx1200): v_sub_nc_u64
// GFX1250-ASM: v_sub_nc_u64_e32 v[4:5], 0xaf123456, v[4:5] ; encoding: [0xfe,0x08,0x08,0x52,0x56,0x34,0x12,0xaf,0x00,0x00,0x00,0x00]
// GFX1250-DIS: v_sub_nc_u64_e32 v[4:5], lit64(0xaf123456), v[4:5] ; encoding: [0xfe,0x08,0x08,0x52,0x56,0x34,0x12,0xaf,0x00,0x00,0x00,0x00]

v_sub_nc_u64 v[4:5], 0x3f717273, v[4:5]
// GFX1200-ERR: :[[@LINE-1]]:1: error: instruction not supported on this GPU (gfx1200): v_sub_nc_u64
// GFX1250: v_sub_nc_u64_e32 v[4:5], 0x3f717273, v[4:5] ; encoding: [0xff,0x08,0x08,0x52,0x73,0x72,0x71,0x3f]

v_sub_nc_u64 v[4:5], v[2:3], v[254:255]
// GFX1200-ERR: :[[@LINE-1]]:1: error: instruction not supported on this GPU (gfx1200): v_sub_nc_u64
// GFX1250: v_sub_nc_u64_e32 v[4:5], v[2:3], v[254:255] ; encoding: [0x02,0xfd,0x09,0x52]

v_sub_nc_u64 v[4:5], v[2:3], v[8:9]
// GFX1200-ERR: :[[@LINE-1]]:1: error: instruction not supported on this GPU (gfx1200): v_sub_nc_u64
// GFX1250: v_sub_nc_u64_e32 v[4:5], v[2:3], v[8:9] ; encoding: [0x02,0x11,0x08,0x52]
	;; [unrolled: 4-line block ×4, first 2 shown]

v_sub_nc_u64 v[4:5], vcc, v[8:9]
// GFX1200-ERR: :[[@LINE-1]]:1: error: instruction not supported on this GPU (gfx1200): v_sub_nc_u64
// GFX1250: v_sub_nc_u64_e32 v[4:5], vcc, v[8:9]    ; encoding: [0x6a,0x10,0x08,0x52]

v_sub_nc_u64 v[4:5], exec, v[8:9]
// GFX1200-ERR: :[[@LINE-1]]:1: error: instruction not supported on this GPU (gfx1200): v_sub_nc_u64
// GFX1250: v_sub_nc_u64_e32 v[4:5], exec, v[8:9]   ; encoding: [0x7e,0x10,0x08,0x52]

v_sub_nc_u64 v[4:5], 0, v[8:9]
// GFX1200-ERR: :[[@LINE-1]]:1: error: instruction not supported on this GPU (gfx1200): v_sub_nc_u64
// GFX1250: v_sub_nc_u64_e32 v[4:5], 0, v[8:9]      ; encoding: [0x80,0x10,0x08,0x52]

v_sub_nc_u64 v[4:5], -1, v[8:9]
// GFX1200-ERR: :[[@LINE-1]]:1: error: instruction not supported on this GPU (gfx1200): v_sub_nc_u64
// GFX1250: v_sub_nc_u64_e32 v[4:5], -1, v[8:9]     ; encoding: [0xc1,0x10,0x08,0x52]

v_sub_nc_u64 v[4:5], 0.5, v[8:9]
// GFX1200-ERR: :[[@LINE-1]]:1: error: instruction not supported on this GPU (gfx1200): v_sub_nc_u64
// GFX1250: v_sub_nc_u64_e32 v[4:5], 0.5, v[8:9]    ; encoding: [0xf0,0x10,0x08,0x52]

v_sub_nc_u64 v[4:5], -4.0, v[8:9]
// GFX1200-ERR: :[[@LINE-1]]:1: error: instruction not supported on this GPU (gfx1200): v_sub_nc_u64
// GFX1250: v_sub_nc_u64_e32 v[4:5], -4.0, v[8:9]   ; encoding: [0xf7,0x10,0x08,0x52]

v_sub_nc_u64 v[4:5], v[2:3], v[254:255]
// GFX1200-ERR: :[[@LINE-1]]:1: error: instruction not supported on this GPU (gfx1200): v_sub_nc_u64
// GFX1250: v_sub_nc_u64_e32 v[4:5], v[2:3], v[254:255] ; encoding: [0x02,0xfd,0x09,0x52]

v_sub_nc_u64 v[4:5], v[2:3], vcc
// GFX1200-ERR: :[[@LINE-1]]:1: error: instruction not supported on this GPU (gfx1200): v_sub_nc_u64
// GFX1250: v_sub_nc_u64_e64 v[4:5], v[2:3], vcc    ; encoding: [0x04,0x00,0x29,0xd5,0x02,0xd5,0x00,0x02]

v_sub_nc_u64 v[4:5], v[2:3], exec
// GFX1200-ERR: :[[@LINE-1]]:1: error: instruction not supported on this GPU (gfx1200): v_sub_nc_u64
// GFX1250: v_sub_nc_u64_e64 v[4:5], v[2:3], exec   ; encoding: [0x04,0x00,0x29,0xd5,0x02,0xfd,0x00,0x02]

v_sub_nc_u64 v[4:5], v[2:3], 0
// GFX1200-ERR: :[[@LINE-1]]:1: error: instruction not supported on this GPU (gfx1200): v_sub_nc_u64
// GFX1250: v_sub_nc_u64_e64 v[4:5], v[2:3], 0      ; encoding: [0x04,0x00,0x29,0xd5,0x02,0x01,0x01,0x02]

v_sub_nc_u64 v[4:5], v[2:3], -1
// GFX1200-ERR: :[[@LINE-1]]:1: error: instruction not supported on this GPU (gfx1200): v_sub_nc_u64
// GFX1250: v_sub_nc_u64_e64 v[4:5], v[2:3], -1     ; encoding: [0x04,0x00,0x29,0xd5,0x02,0x83,0x01,0x02]

v_sub_nc_u64 v[4:5], v[2:3], 0.5
// GFX1200-ERR: :[[@LINE-1]]:1: error: instruction not supported on this GPU (gfx1200): v_sub_nc_u64
// GFX1250: v_sub_nc_u64_e64 v[4:5], v[2:3], 0.5    ; encoding: [0x04,0x00,0x29,0xd5,0x02,0xe1,0x01,0x02]

v_sub_nc_u64 v[4:5], v[2:3], -4.0
// GFX1200-ERR: :[[@LINE-1]]:1: error: instruction not supported on this GPU (gfx1200): v_sub_nc_u64
// GFX1250: v_sub_nc_u64_e64 v[4:5], v[2:3], -4.0   ; encoding: [0x04,0x00,0x29,0xd5,0x02,0xef,0x01,0x02]

v_sub_nc_u64 v[4:5], v[2:3], v[8:9] clamp
// GFX1200-ERR: :[[@LINE-1]]:1: error: instruction not supported on this GPU (gfx1200): v_sub_nc_u64
// GFX1250: v_sub_nc_u64_e64 v[4:5], v[2:3], v[8:9] clamp ; encoding: [0x04,0x80,0x29,0xd5,0x02,0x11,0x02,0x02]

v_mul_u64 v[4:5], v[2:3], v[4:5]
// GFX1200-ERR: :[[@LINE-1]]:1: error: instruction not supported on this GPU (gfx1200): v_mul_u64
// GFX1250: v_mul_u64_e32 v[4:5], v[2:3], v[4:5]    ; encoding: [0x02,0x09,0x08,0x54]

v_mul_u64 v[254:255], v[2:3], v[4:5]
// GFX1200-ERR: :[[@LINE-1]]:1: error: instruction not supported on this GPU (gfx1200): v_mul_u64
// GFX1250: v_mul_u64_e32 v[254:255], v[2:3], v[4:5] ; encoding: [0x02,0x09,0xfc,0x55]

v_mul_u64_e64 v[4:5], s[2:3], s[4:5]
// GFX1200-ERR: :[[@LINE-1]]:1: error: instruction not supported on this GPU (gfx1200): v_mul_u64
// GFX1250: v_mul_u64_e64 v[4:5], s[2:3], s[4:5]    ; encoding: [0x04,0x00,0x2a,0xd5,0x02,0x08,0x00,0x02]

v_mul_u64 v[4:5], v[254:255], v[4:5]
// GFX1200-ERR: :[[@LINE-1]]:1: error: instruction not supported on this GPU (gfx1200): v_mul_u64
// GFX1250: v_mul_u64_e32 v[4:5], v[254:255], v[4:5] ; encoding: [0xfe,0x09,0x08,0x54]

v_mul_u64 v[4:5], vcc, v[4:5]
// GFX1200-ERR: :[[@LINE-1]]:1: error: instruction not supported on this GPU (gfx1200): v_mul_u64
// GFX1250: v_mul_u64_e32 v[4:5], vcc, v[4:5]       ; encoding: [0x6a,0x08,0x08,0x54]

v_mul_u64 v[4:5], exec, v[4:5]
// GFX1200-ERR: :[[@LINE-1]]:1: error: instruction not supported on this GPU (gfx1200): v_mul_u64
// GFX1250: v_mul_u64_e32 v[4:5], exec, v[4:5]      ; encoding: [0x7e,0x08,0x08,0x54]

v_mul_u64 v[4:5], 0, v[4:5]
// GFX1200-ERR: :[[@LINE-1]]:1: error: instruction not supported on this GPU (gfx1200): v_mul_u64
// GFX1250: v_mul_u64_e32 v[4:5], 0, v[4:5]         ; encoding: [0x80,0x08,0x08,0x54]

v_mul_u64 v[4:5], -1, v[4:5]
// GFX1200-ERR: :[[@LINE-1]]:1: error: instruction not supported on this GPU (gfx1200): v_mul_u64
// GFX1250: v_mul_u64_e32 v[4:5], -1, v[4:5]        ; encoding: [0xc1,0x08,0x08,0x54]

v_mul_u64 v[4:5], 0.5, v[4:5]
// GFX1200-ERR: :[[@LINE-1]]:1: error: instruction not supported on this GPU (gfx1200): v_mul_u64
// GFX1250: v_mul_u64_e32 v[4:5], 0.5, v[4:5]       ; encoding: [0xf0,0x08,0x08,0x54]

v_mul_u64 v[4:5], -4.0, v[4:5]
// GFX1200-ERR: :[[@LINE-1]]:1: error: instruction not supported on this GPU (gfx1200): v_mul_u64
// GFX1250: v_mul_u64_e32 v[4:5], -4.0, v[4:5]      ; encoding: [0xf7,0x08,0x08,0x54]

v_mul_u64 v[4:5], 0xaf123456, v[4:5]
// GFX1200-ERR: :[[@LINE-1]]:1: error: instruction not supported on this GPU (gfx1200): v_mul_u64
// GFX1250-ASM: v_mul_u64_e32 v[4:5], 0xaf123456, v[4:5] ; encoding: [0xfe,0x08,0x08,0x54,0x56,0x34,0x12,0xaf,0x00,0x00,0x00,0x00]
// GFX1250-DIS: v_mul_u64_e32 v[4:5], lit64(0xaf123456), v[4:5] ; encoding: [0xfe,0x08,0x08,0x54,0x56,0x34,0x12,0xaf,0x00,0x00,0x00,0x00]

v_mul_u64 v[4:5], 0x3f717273, v[4:5]
// GFX1200-ERR: :[[@LINE-1]]:1: error: instruction not supported on this GPU (gfx1200): v_mul_u64
// GFX1250: v_mul_u64_e32 v[4:5], 0x3f717273, v[4:5] ; encoding: [0xff,0x08,0x08,0x54,0x73,0x72,0x71,0x3f]

v_mul_u64 v[4:5], v[2:3], v[254:255]
// GFX1200-ERR: :[[@LINE-1]]:1: error: instruction not supported on this GPU (gfx1200): v_mul_u64
// GFX1250: v_mul_u64_e32 v[4:5], v[2:3], v[254:255] ; encoding: [0x02,0xfd,0x09,0x54]

v_mul_u64 v[4:5], v[2:3], v[8:9]
// GFX1200-ERR: :[[@LINE-1]]:1: error: instruction not supported on this GPU (gfx1200): v_mul_u64
// GFX1250: v_mul_u64_e32 v[4:5], v[2:3], v[8:9]    ; encoding: [0x02,0x11,0x08,0x54]

v_mul_u64 v[254:255], v[2:3], v[8:9]
// GFX1200-ERR: :[[@LINE-1]]:1: error: instruction not supported on this GPU (gfx1200): v_mul_u64
// GFX1250: v_mul_u64_e32 v[254:255], v[2:3], v[8:9] ; encoding: [0x02,0x11,0xfc,0x55]

v_mul_u64 v[4:5], v[254:255], v[8:9]
// GFX1200-ERR: :[[@LINE-1]]:1: error: instruction not supported on this GPU (gfx1200): v_mul_u64
// GFX1250: v_mul_u64_e32 v[4:5], v[254:255], v[8:9] ; encoding: [0xfe,0x11,0x08,0x54]

v_mul_u64 v[4:5], vcc, v[8:9]
// GFX1200-ERR: :[[@LINE-1]]:1: error: instruction not supported on this GPU (gfx1200): v_mul_u64
// GFX1250: v_mul_u64_e32 v[4:5], vcc, v[8:9]       ; encoding: [0x6a,0x10,0x08,0x54]

v_mul_u64 v[4:5], exec, v[8:9]
// GFX1200-ERR: :[[@LINE-1]]:1: error: instruction not supported on this GPU (gfx1200): v_mul_u64
// GFX1250: v_mul_u64_e32 v[4:5], exec, v[8:9]      ; encoding: [0x7e,0x10,0x08,0x54]

v_mul_u64 v[4:5], 0, v[8:9]
// GFX1200-ERR: :[[@LINE-1]]:1: error: instruction not supported on this GPU (gfx1200): v_mul_u64
// GFX1250: v_mul_u64_e32 v[4:5], 0, v[8:9]         ; encoding: [0x80,0x10,0x08,0x54]

v_mul_u64 v[4:5], -1, v[8:9]
// GFX1200-ERR: :[[@LINE-1]]:1: error: instruction not supported on this GPU (gfx1200): v_mul_u64
// GFX1250: v_mul_u64_e32 v[4:5], -1, v[8:9]        ; encoding: [0xc1,0x10,0x08,0x54]

v_mul_u64 v[4:5], 0.5, v[8:9]
// GFX1200-ERR: :[[@LINE-1]]:1: error: instruction not supported on this GPU (gfx1200): v_mul_u64
// GFX1250: v_mul_u64_e32 v[4:5], 0.5, v[8:9]       ; encoding: [0xf0,0x10,0x08,0x54]

v_mul_u64 v[4:5], -4.0, v[8:9]
// GFX1200-ERR: :[[@LINE-1]]:1: error: instruction not supported on this GPU (gfx1200): v_mul_u64
// GFX1250: v_mul_u64_e32 v[4:5], -4.0, v[8:9]      ; encoding: [0xf7,0x10,0x08,0x54]

v_mul_u64 v[4:5], v[2:3], v[254:255]
// GFX1200-ERR: :[[@LINE-1]]:1: error: instruction not supported on this GPU (gfx1200): v_mul_u64
// GFX1250: v_mul_u64_e32 v[4:5], v[2:3], v[254:255] ; encoding: [0x02,0xfd,0x09,0x54]

v_mul_u64 v[4:5], v[2:3], vcc
// GFX1200-ERR: :[[@LINE-1]]:1: error: instruction not supported on this GPU (gfx1200): v_mul_u64
// GFX1250: v_mul_u64_e64 v[4:5], v[2:3], vcc       ; encoding: [0x04,0x00,0x2a,0xd5,0x02,0xd5,0x00,0x02]

v_mul_u64 v[4:5], v[2:3], exec
// GFX1200-ERR: :[[@LINE-1]]:1: error: instruction not supported on this GPU (gfx1200): v_mul_u64
// GFX1250: v_mul_u64_e64 v[4:5], v[2:3], exec      ; encoding: [0x04,0x00,0x2a,0xd5,0x02,0xfd,0x00,0x02]

v_mul_u64 v[4:5], v[2:3], 0
// GFX1200-ERR: :[[@LINE-1]]:1: error: instruction not supported on this GPU (gfx1200): v_mul_u64
// GFX1250: v_mul_u64_e64 v[4:5], v[2:3], 0         ; encoding: [0x04,0x00,0x2a,0xd5,0x02,0x01,0x01,0x02]

v_mul_u64 v[4:5], v[2:3], -1
// GFX1200-ERR: :[[@LINE-1]]:1: error: instruction not supported on this GPU (gfx1200): v_mul_u64
// GFX1250: v_mul_u64_e64 v[4:5], v[2:3], -1        ; encoding: [0x04,0x00,0x2a,0xd5,0x02,0x83,0x01,0x02]

v_mul_u64 v[4:5], v[2:3], 0.5
// GFX1200-ERR: :[[@LINE-1]]:1: error: instruction not supported on this GPU (gfx1200): v_mul_u64
// GFX1250: v_mul_u64_e64 v[4:5], v[2:3], 0.5       ; encoding: [0x04,0x00,0x2a,0xd5,0x02,0xe1,0x01,0x02]

v_mul_u64 v[4:5], v[2:3], -4.0
// GFX1200-ERR: :[[@LINE-1]]:1: error: instruction not supported on this GPU (gfx1200): v_mul_u64
// GFX1250: v_mul_u64_e64 v[4:5], v[2:3], -4.0      ; encoding: [0x04,0x00,0x2a,0xd5,0x02,0xef,0x01,0x02]

v_fmamk_f64 v[6:7], v[4:5], 0x405ec000, v[2:3]
// GFX1200-ERR: :[[@LINE-1]]:1: error: instruction not supported on this GPU (gfx1200): v_fmamk_f64
// GFX1250: v_fmamk_f64 v[6:7], v[4:5], 0x405ec000, v[2:3] ; encoding: [0x04,0x05,0x0c,0x46,0x00,0x00,0x00,0x00,0x00,0xc0,0x5e,0x40]

v_fmamk_f64 v[6:7], v[254:255], 0x405ec00000000000, v[2:3]
// GFX1200-ERR: :[[@LINE-1]]:1: error: instruction not supported on this GPU (gfx1200): v_fmamk_f64
// GFX1250: v_fmamk_f64 v[6:7], v[254:255], 0x405ec000, v[2:3] ; encoding: [0xfe,0x05,0x0c,0x46,0x00,0x00,0x00,0x00,0x00,0xc0,0x5e,0x40]
	;; [unrolled: 4-line block ×3, first 2 shown]

v_fmamk_f64 v[6:7], vcc, 0x405ec000, v[2:3]
// GFX1200-ERR: :[[@LINE-1]]:1: error: instruction not supported on this GPU (gfx1200): v_fmamk_f64
// GFX1250: v_fmamk_f64 v[6:7], vcc, 0x405ec000, v[2:3] ; encoding: [0x6a,0x04,0x0c,0x46,0x00,0x00,0x00,0x00,0x00,0xc0,0x5e,0x40]

v_fmamk_f64 v[6:7], exec, 0x405ec000, v[2:3]
// GFX1200-ERR: :[[@LINE-1]]:1: error: instruction not supported on this GPU (gfx1200): v_fmamk_f64
// GFX1250: v_fmamk_f64 v[6:7], exec, 0x405ec000, v[2:3] ; encoding: [0x7e,0x04,0x0c,0x46,0x00,0x00,0x00,0x00,0x00,0xc0,0x5e,0x40]

v_fmamk_f64 v[6:7], null, 0x405ec000, v[2:3]
// GFX1200-ERR: :[[@LINE-1]]:1: error: instruction not supported on this GPU (gfx1200): v_fmamk_f64
// GFX1250: v_fmamk_f64 v[6:7], null, 0x405ec000, v[2:3] ; encoding: [0x7c,0x04,0x0c,0x46,0x00,0x00,0x00,0x00,0x00,0xc0,0x5e,0x40]

v_fmamk_f64 v[6:7], -1, 0x405ec000, v[2:3]
// GFX1200-ERR: :[[@LINE-1]]:1: error: instruction not supported on this GPU (gfx1200): v_fmamk_f64
// GFX1250: v_fmamk_f64 v[6:7], -1, 0x405ec000, v[2:3] ; encoding: [0xc1,0x04,0x0c,0x46,0x00,0x00,0x00,0x00,0x00,0xc0,0x5e,0x40]

v_fmamk_f64 v[6:7], 0.5, 0x405ec000, v[2:3]
// GFX1200-ERR: :[[@LINE-1]]:1: error: instruction not supported on this GPU (gfx1200): v_fmamk_f64
// GFX1250: v_fmamk_f64 v[6:7], 0.5, 0x405ec000, v[2:3] ; encoding: [0xf0,0x04,0x0c,0x46,0x00,0x00,0x00,0x00,0x00,0xc0,0x5e,0x40]

v_fmamk_f64 v[6:7], src_scc, 0x405ec000, v[2:3]
// GFX1200-ERR: :[[@LINE-1]]:1: error: instruction not supported on this GPU (gfx1200): v_fmamk_f64
// GFX1250: v_fmamk_f64 v[6:7], src_scc, 0x405ec000, v[2:3] ; encoding: [0xfd,0x04,0x0c,0x46,0x00,0x00,0x00,0x00,0x00,0xc0,0x5e,0x40]

v_fmamk_f64 v[254:255], 0x405ec000, 0x405ec000, v[254:255]
// GFX1200-ERR: :[[@LINE-1]]:1: error: instruction not supported on this GPU (gfx1200): v_fmamk_f64
// GFX1250: v_fmamk_f64 v[254:255], 0x405ec000, 0x405ec000, v[254:255] ; encoding: [0xfe,0xfc,0xfd,0x47,0x00,0x00,0x00,0x00,0x00,0xc0,0x5e,0x40]

v_fmamk_f64 v[254:255], 0x405ec00012345678, 0x405ec00012345678, v[254:255]
// GFX1200-ERR: :[[@LINE-1]]:1: error: instruction not supported on this GPU (gfx1200): v_fmamk_f64
// GFX1250: v_fmamk_f64 v[254:255], 0x405ec00012345678, 0x405ec00012345678, v[254:255] ; encoding: [0xfe,0xfc,0xfd,0x47,0x78,0x56,0x34,0x12,0x00,0xc0,0x5e,0x40]

v_fmamk_f64 v[254:255], 123.0, 0x405ec000, v[2:3]
// GFX1200-ERR: :[[@LINE-1]]:1: error: instruction not supported on this GPU (gfx1200): v_fmamk_f64
// GFX1250: v_fmamk_f64 v[254:255], 0x405ec000, 0x405ec000, v[2:3] ; encoding: [0xfe,0x04,0xfc,0x47,0x00,0x00,0x00,0x00,0x00,0xc0,0x5e,0x40]

v_fmamk_f64 v[4:5], v[2:3], 123.1, v[6:7]
// GFX1200-ERR: :[[@LINE-1]]:1: error: instruction not supported on this GPU (gfx1200): v_fmamk_f64
// GFX1250: v_fmamk_f64 v[4:5], v[2:3], 0x405ec66666666666, v[6:7] ; encoding: [0x02,0x0d,0x08,0x46,0x66,0x66,0x66,0x66,0x66,0xc6,0x5e,0x40]

v_fmamk_f64 v[4:5], 0x405ec66666666666, 123.1, v[6:7]
// GFX1200-ERR: :[[@LINE-1]]:1: error: instruction not supported on this GPU (gfx1200): v_fmamk_f64
// GFX1250: v_fmamk_f64 v[4:5], 0x405ec66666666666, 0x405ec66666666666, v[6:7] ; encoding: [0xfe,0x0c,0x08,0x46,0x66,0x66,0x66,0x66,0x66,0xc6,0x5e,0x40]

v_fmamk_f64 v[4:5], 123.1, 123.1, v[8:9]
// GFX1200-ERR: :[[@LINE-1]]:1: error: instruction not supported on this GPU (gfx1200): v_fmamk_f64
// GFX1250: v_fmamk_f64 v[4:5], 0x405ec66666666666, 0x405ec66666666666, v[8:9] ; encoding: [0xfe,0x10,0x08,0x46,0x66,0x66,0x66,0x66,0x66,0xc6,0x5e,0x40]

v_fmamk_f64 v[4:5], 1.0, 1.0, v[6:7]
// GFX1200-ERR: :[[@LINE-1]]:1: error: instruction not supported on this GPU (gfx1200): v_fmamk_f64
// GFX1250: v_fmamk_f64 v[4:5], 1.0, 0x3ff00000, v[6:7] ; encoding: [0xf2,0x0c,0x08,0x46,0x00,0x00,0x00,0x00,0x00,0x00,0xf0,0x3f]

v_fmamk_f64 v[4:5], 1e-320, 1e-320, v[6:7]
// GFX1200-ERR: :[[@LINE-1]]:1: error: instruction not supported on this GPU (gfx1200): v_fmamk_f64
// GFX1250: v_fmamk_f64 v[4:5], lit64(0x7e8), lit64(0x7e8), v[6:7] ; encoding: [0xfe,0x0c,0x08,0x46,0xe8,0x07,0x00,0x00,0x00,0x00,0x00,0x00]

v_fmamk_f64 v[4:5], lit64(0x7e8), 1e-320, v[8:9]
// GFX1200-ERR: :[[@LINE-1]]:1: error: instruction not supported on this GPU (gfx1200): v_fmamk_f64
// GFX1250: v_fmamk_f64 v[4:5], lit64(0x7e8), lit64(0x7e8), v[8:9] ; encoding: [0xfe,0x10,0x08,0x46,0xe8,0x07,0x00,0x00,0x00,0x00,0x00,0x00]

v_fmamk_f64 v[4:5], lit64(0x7e8), lit64(0x7e8), v[8:9]
// GFX1200-ERR: :[[@LINE-1]]:1: error: instruction not supported on this GPU (gfx1200): v_fmamk_f64
// GFX1250: v_fmamk_f64 v[4:5], lit64(0x7e8), lit64(0x7e8), v[8:9] ; encoding: [0xfe,0x10,0x08,0x46,0xe8,0x07,0x00,0x00,0x00,0x00,0x00,0x00]

v_fmaak_f64 v[6:7], v[4:5], v[8:9], 0x405ec000
// GFX1200-ERR: :[[@LINE-1]]:1: error: instruction not supported on this GPU (gfx1200): v_fmaak_f64
// GFX1250: v_fmaak_f64 v[6:7], v[4:5], v[8:9], 0x405ec000 ; encoding: [0x04,0x11,0x0c,0x48,0x00,0x00,0x00,0x00,0x00,0xc0,0x5e,0x40]

v_fmaak_f64 v[6:7], v[254:255], v[8:9], 0x405ec00000000000
// GFX1200-ERR: :[[@LINE-1]]:1: error: instruction not supported on this GPU (gfx1200): v_fmaak_f64
// GFX1250: v_fmaak_f64 v[6:7], v[254:255], v[8:9], 0x405ec000 ; encoding: [0xfe,0x11,0x0c,0x48,0x00,0x00,0x00,0x00,0x00,0xc0,0x5e,0x40]
	;; [unrolled: 4-line block ×3, first 2 shown]

v_fmaak_f64 v[6:7], vcc, v[8:9], 0x405ec000
// GFX1200-ERR: :[[@LINE-1]]:1: error: instruction not supported on this GPU (gfx1200): v_fmaak_f64
// GFX1250: v_fmaak_f64 v[6:7], vcc, v[8:9], 0x405ec000 ; encoding: [0x6a,0x10,0x0c,0x48,0x00,0x00,0x00,0x00,0x00,0xc0,0x5e,0x40]

v_fmaak_f64 v[6:7], exec, v[8:9], 0x405ec000
// GFX1200-ERR: :[[@LINE-1]]:1: error: instruction not supported on this GPU (gfx1200): v_fmaak_f64
// GFX1250: v_fmaak_f64 v[6:7], exec, v[8:9], 0x405ec000 ; encoding: [0x7e,0x10,0x0c,0x48,0x00,0x00,0x00,0x00,0x00,0xc0,0x5e,0x40]

v_fmaak_f64 v[6:7], null, v[8:9], 0x405ec000
// GFX1200-ERR: :[[@LINE-1]]:1: error: instruction not supported on this GPU (gfx1200): v_fmaak_f64
// GFX1250: v_fmaak_f64 v[6:7], null, v[8:9], 0x405ec000 ; encoding: [0x7c,0x10,0x0c,0x48,0x00,0x00,0x00,0x00,0x00,0xc0,0x5e,0x40]

v_fmaak_f64 v[6:7], -1, v[8:9], 0x405ec000
// GFX1200-ERR: :[[@LINE-1]]:1: error: instruction not supported on this GPU (gfx1200): v_fmaak_f64
// GFX1250: v_fmaak_f64 v[6:7], -1, v[8:9], 0x405ec000 ; encoding: [0xc1,0x10,0x0c,0x48,0x00,0x00,0x00,0x00,0x00,0xc0,0x5e,0x40]

v_fmaak_f64 v[6:7], 0.5, v[8:9], 0x405ec000
// GFX1200-ERR: :[[@LINE-1]]:1: error: instruction not supported on this GPU (gfx1200): v_fmaak_f64
// GFX1250: v_fmaak_f64 v[6:7], 0.5, v[8:9], 0x405ec000 ; encoding: [0xf0,0x10,0x0c,0x48,0x00,0x00,0x00,0x00,0x00,0xc0,0x5e,0x40]

v_fmaak_f64 v[6:7], src_scc, v[8:9], 0x405ec000
// GFX1200-ERR: :[[@LINE-1]]:1: error: instruction not supported on this GPU (gfx1200): v_fmaak_f64
// GFX1250: v_fmaak_f64 v[6:7], src_scc, v[8:9], 0x405ec000 ; encoding: [0xfd,0x10,0x0c,0x48,0x00,0x00,0x00,0x00,0x00,0xc0,0x5e,0x40]

v_fmaak_f64 v[254:255], 0x405ec000, v[254:255], 0x405ec000
// GFX1200-ERR: :[[@LINE-1]]:1: error: instruction not supported on this GPU (gfx1200): v_fmaak_f64
// GFX1250: v_fmaak_f64 v[254:255], 0x405ec000, v[254:255], 0x405ec000 ; encoding: [0xfe,0xfc,0xfd,0x49,0x00,0x00,0x00,0x00,0x00,0xc0,0x5e,0x40]

v_fmaak_f64 v[254:255], 0x405ec00000000000, v[254:255], 0x405ec00000000000
// GFX1200-ERR: :[[@LINE-1]]:1: error: instruction not supported on this GPU (gfx1200): v_fmaak_f64
// GFX1250: v_fmaak_f64 v[254:255], 0x405ec000, v[254:255], 0x405ec000 ; encoding: [0xfe,0xfc,0xfd,0x49,0x00,0x00,0x00,0x00,0x00,0xc0,0x5e,0x40]
	;; [unrolled: 4-line block ×3, first 2 shown]

v_fmaak_f64 v[254:255], lit64(0x405ec00012345678), v[254:255], lit64(0x405ec00012345678)
// GFX1200-ERR: :[[@LINE-1]]:1: error: instruction not supported on this GPU (gfx1200): v_fmaak_f64
// GFX1250-ASM: v_fmaak_f64 v[254:255], lit64(0x405ec00012345678), v[254:255], lit64(0x405ec00012345678) ; encoding: [0xfe,0xfc,0xfd,0x49,0x78,0x56,0x34,0x12,0x00,0xc0,0x5e,0x40]
// GFX1250-DIS: v_fmaak_f64 v[254:255], 0x405ec00012345678, v[254:255], 0x405ec00012345678 ; encoding: [0xfe,0xfc,0xfd,0x49,0x78,0x56,0x34,0x12,0x00,0xc0,0x5e,0x40]

v_fmaak_f64 v[254:255], 123.0, v[2:3], 0x405ec000
// GFX1200-ERR: :[[@LINE-1]]:1: error: instruction not supported on this GPU (gfx1200): v_fmaak_f64
// GFX1250: v_fmaak_f64 v[254:255], 0x405ec000, v[2:3], 0x405ec000 ; encoding: [0xfe,0x04,0xfc,0x49,0x00,0x00,0x00,0x00,0x00,0xc0,0x5e,0x40]

v_fmaak_f64 v[4:5], v[2:3], v[2:3], 123.1
// GFX1200-ERR: :[[@LINE-1]]:1: error: instruction not supported on this GPU (gfx1200): v_fmaak_f64
// GFX1250: v_fmaak_f64 v[4:5], v[2:3], v[2:3], 0x405ec66666666666 ; encoding: [0x02,0x05,0x08,0x48,0x66,0x66,0x66,0x66,0x66,0xc6,0x5e,0x40]

v_fmaak_f64 v[4:5], 0x405ec66666666666, v[6:7], 123.1
// GFX1200-ERR: :[[@LINE-1]]:1: error: instruction not supported on this GPU (gfx1200): v_fmaak_f64
// GFX1250: v_fmaak_f64 v[4:5], 0x405ec66666666666, v[6:7], 0x405ec66666666666 ; encoding: [0xfe,0x0c,0x08,0x48,0x66,0x66,0x66,0x66,0x66,0xc6,0x5e,0x40]

v_fmaak_f64 v[4:5], 123.1, v[8:9], 123.1
// GFX1200-ERR: :[[@LINE-1]]:1: error: instruction not supported on this GPU (gfx1200): v_fmaak_f64
// GFX1250: v_fmaak_f64 v[4:5], 0x405ec66666666666, v[8:9], 0x405ec66666666666 ; encoding: [0xfe,0x10,0x08,0x48,0x66,0x66,0x66,0x66,0x66,0xc6,0x5e,0x40]

v_fmaak_f64 v[4:5], 1.0, v[8:9], 1.0
// GFX1200-ERR: :[[@LINE-1]]:1: error: instruction not supported on this GPU (gfx1200): v_fmaak_f64
// GFX1250: v_fmaak_f64 v[4:5], 1.0, v[8:9], 0x3ff00000 ; encoding: [0xf2,0x10,0x08,0x48,0x00,0x00,0x00,0x00,0x00,0x00,0xf0,0x3f]

v_fmaak_f64 v[4:5], 1e-320, v[6:7], 1e-320
// GFX1200-ERR: :[[@LINE-1]]:1: error: instruction not supported on this GPU (gfx1200): v_fmaak_f64
// GFX1250: v_fmaak_f64 v[4:5], lit64(0x7e8), v[6:7], lit64(0x7e8) ; encoding: [0xfe,0x0c,0x08,0x48,0xe8,0x07,0x00,0x00,0x00,0x00,0x00,0x00]

v_fmaak_f64 v[4:5], lit64(0x7e8), v[8:9], 1e-320
// GFX1200-ERR: :[[@LINE-1]]:1: error: instruction not supported on this GPU (gfx1200): v_fmaak_f64
// GFX1250: v_fmaak_f64 v[4:5], lit64(0x7e8), v[8:9], lit64(0x7e8) ; encoding: [0xfe,0x10,0x08,0x48,0xe8,0x07,0x00,0x00,0x00,0x00,0x00,0x00]

v_fmaak_f64 v[4:5], lit64(0x7e8), v[8:9], lit64(0x7e8)
// GFX1200-ERR: :[[@LINE-1]]:1: error: instruction not supported on this GPU (gfx1200): v_fmaak_f64
// GFX1250: v_fmaak_f64 v[4:5], lit64(0x7e8), v[8:9], lit64(0x7e8) ; encoding: [0xfe,0x10,0x08,0x48,0xe8,0x07,0x00,0x00,0x00,0x00,0x00,0x00]
